;; amdgpu-corpus repo=ROCm/rocFFT kind=compiled arch=gfx906 opt=O3
	.text
	.amdgcn_target "amdgcn-amd-amdhsa--gfx906"
	.amdhsa_code_object_version 6
	.protected	bluestein_single_back_len640_dim1_sp_op_CI_CI ; -- Begin function bluestein_single_back_len640_dim1_sp_op_CI_CI
	.globl	bluestein_single_back_len640_dim1_sp_op_CI_CI
	.p2align	8
	.type	bluestein_single_back_len640_dim1_sp_op_CI_CI,@function
bluestein_single_back_len640_dim1_sp_op_CI_CI: ; @bluestein_single_back_len640_dim1_sp_op_CI_CI
; %bb.0:
	s_load_dwordx4 s[0:3], s[4:5], 0x28
	v_lshrrev_b32_e32 v1, 6, v0
	v_mov_b32_e32 v57, 0
	v_lshl_or_b32 v86, s6, 1, v1
	v_mov_b32_e32 v87, v57
	s_waitcnt lgkmcnt(0)
	v_cmp_gt_u64_e32 vcc, s[0:1], v[86:87]
	s_and_saveexec_b64 s[0:1], vcc
	s_cbranch_execz .LBB0_23
; %bb.1:
	s_load_dwordx4 s[8:11], s[4:5], 0x18
	v_and_b32_e32 v98, 63, v0
	v_lshlrev_b32_e32 v32, 3, v98
	v_and_b32_e32 v0, 64, v0
	v_mov_b32_e32 v21, 0x280
	s_waitcnt lgkmcnt(0)
	s_load_dwordx4 s[12:15], s[8:9], 0x0
	v_or_b32_e32 v56, 64, v98
	s_load_dwordx2 s[6:7], s[4:5], 0x38
	s_waitcnt lgkmcnt(0)
	v_mad_u64_u32 v[1:2], s[0:1], s14, v86, 0
	v_mad_u64_u32 v[3:4], s[0:1], s12, v98, 0
	;; [unrolled: 1-line block ×3, first 2 shown]
	s_load_dwordx2 s[14:15], s[4:5], 0x0
	v_mad_u64_u32 v[6:7], s[0:1], s13, v98, v[4:5]
	v_mov_b32_e32 v2, v5
	v_lshlrev_b64 v[1:2], 3, v[1:2]
	v_mov_b32_e32 v4, v6
	v_mov_b32_e32 v7, s3
	v_lshlrev_b64 v[3:4], 3, v[3:4]
	v_add_co_u32_e32 v1, vcc, s2, v1
	v_addc_co_u32_e32 v2, vcc, v7, v2, vcc
	s_mul_i32 s0, s13, 0x50
	s_mul_hi_u32 s1, s12, 0x50
	v_add_co_u32_e32 v1, vcc, v1, v3
	s_waitcnt lgkmcnt(0)
	v_mov_b32_e32 v3, s15
	v_add_co_u32_e64 v68, s[2:3], s14, v32
	s_add_i32 s1, s1, s0
	s_mul_i32 s0, s12, 0x50
	v_addc_co_u32_e32 v2, vcc, v2, v4, vcc
	v_addc_co_u32_e64 v69, vcc, 0, v3, s[2:3]
	s_lshl_b64 s[16:17], s[0:1], 3
	global_load_dwordx2 v[5:6], v[1:2], off
	v_mov_b32_e32 v19, s17
	v_add_co_u32_e32 v1, vcc, s16, v1
	v_addc_co_u32_e32 v2, vcc, v2, v19, vcc
	global_load_dwordx2 v[7:8], v[1:2], off
	v_add_co_u32_e32 v1, vcc, s16, v1
	v_addc_co_u32_e32 v2, vcc, v2, v19, vcc
	v_add_co_u32_e32 v3, vcc, s16, v1
	v_addc_co_u32_e32 v4, vcc, v2, v19, vcc
	;; [unrolled: 2-line block ×3, first 2 shown]
	global_load_dwordx2 v[84:85], v32, s[14:15]
	global_load_dwordx2 v[82:83], v32, s[14:15] offset:640
	global_load_dwordx2 v[76:77], v32, s[14:15] offset:1280
	;; [unrolled: 1-line block ×3, first 2 shown]
	global_load_dwordx2 v[11:12], v[1:2], off
	global_load_dwordx2 v[13:14], v[3:4], off
	;; [unrolled: 1-line block ×3, first 2 shown]
	global_load_dwordx2 v[70:71], v32, s[14:15] offset:2560
	v_add_co_u32_e32 v1, vcc, s16, v9
	v_addc_co_u32_e32 v2, vcc, v10, v19, vcc
	global_load_dwordx2 v[9:10], v[1:2], off
	v_add_co_u32_e32 v1, vcc, s16, v1
	v_addc_co_u32_e32 v2, vcc, v2, v19, vcc
	v_add_co_u32_e32 v3, vcc, s16, v1
	v_addc_co_u32_e32 v4, vcc, v2, v19, vcc
	s_movk_i32 s0, 0x1000
	global_load_dwordx2 v[17:18], v[1:2], off
	global_load_dwordx2 v[80:81], v32, s[14:15] offset:3200
	global_load_dwordx2 v[74:75], v32, s[14:15] offset:3840
	v_add_co_u32_e32 v1, vcc, s0, v68
	v_addc_co_u32_e32 v2, vcc, 0, v69, vcc
	global_load_dwordx2 v[78:79], v[1:2], off offset:384
	global_load_dwordx2 v[19:20], v[3:4], off
	v_cmp_ne_u32_e32 vcc, 0, v0
	v_cndmask_b32_e32 v100, 0, v21, vcc
	v_or_b32_e32 v0, v100, v98
	v_lshlrev_b32_e32 v99, 3, v0
	v_lshl_or_b32 v97, v100, 3, v32
	s_load_dwordx4 s[8:11], s[10:11], 0x0
	s_mov_b64 s[0:1], 0x50
	v_cmp_gt_u64_e64 s[0:1], s[0:1], v[56:57]
	s_waitcnt vmcnt(13)
	v_mul_f32_e32 v21, v6, v85
	v_mul_f32_e32 v0, v5, v85
	v_fmac_f32_e32 v21, v5, v84
	v_fma_f32 v22, v6, v84, -v0
	s_waitcnt vmcnt(12)
	v_mul_f32_e32 v5, v8, v83
	v_mul_f32_e32 v0, v7, v83
	v_fmac_f32_e32 v5, v7, v82
	v_fma_f32 v6, v8, v82, -v0
	;; [unrolled: 5-line block ×3, first 2 shown]
	s_waitcnt vmcnt(8)
	v_mul_f32_e32 v0, v13, v73
	ds_write_b64 v99, v[21:22]
	ds_write2_b64 v97, v[5:6], v[7:8] offset0:80 offset1:160
	v_mul_f32_e32 v5, v14, v73
	v_fma_f32 v6, v14, v72, -v0
	s_waitcnt vmcnt(6)
	v_mul_f32_e32 v7, v16, v71
	v_mul_f32_e32 v0, v15, v71
	v_fmac_f32_e32 v5, v13, v72
	v_fmac_f32_e32 v7, v15, v70
	v_fma_f32 v8, v16, v70, -v0
	v_add_u32_e32 v0, 0x400, v97
	ds_write2_b64 v0, v[5:6], v[7:8] offset0:112 offset1:192
	s_waitcnt vmcnt(3)
	v_mul_f32_e32 v5, v9, v81
	v_mul_f32_e32 v6, v10, v81
	v_fma_f32 v7, v10, v80, -v5
	s_waitcnt vmcnt(2)
	v_mul_f32_e32 v8, v18, v75
	v_mul_f32_e32 v5, v17, v75
	v_fmac_f32_e32 v6, v9, v80
	v_fmac_f32_e32 v8, v17, v74
	v_fma_f32 v9, v18, v74, -v5
	v_add_u32_e32 v5, 0x800, v97
	ds_write2_b64 v5, v[6:7], v[8:9] offset0:144 offset1:224
	s_waitcnt vmcnt(0)
	v_mul_f32_e32 v6, v20, v79
	v_mul_f32_e32 v7, v19, v79
	v_fmac_f32_e32 v6, v19, v78
	v_fma_f32 v7, v20, v78, -v7
	ds_write_b64 v97, v[6:7] offset:4480
	s_and_saveexec_b64 s[18:19], s[0:1]
	s_cbranch_execz .LBB0_3
; %bb.2:
	v_mov_b32_e32 v6, 0xfffff080
	v_mad_u64_u32 v[3:4], s[20:21], s12, v6, v[3:4]
	s_mulk_i32 s13, 0xf080
	s_sub_i32 s12, s13, s12
	v_add_u32_e32 v4, s12, v4
	global_load_dwordx2 v[6:7], v[3:4], off
	global_load_dwordx2 v[8:9], v[68:69], off offset:512
	v_mov_b32_e32 v35, s17
	v_add_co_u32_e32 v3, vcc, s16, v3
	v_addc_co_u32_e32 v4, vcc, v4, v35, vcc
	global_load_dwordx2 v[10:11], v[3:4], off
	v_add_co_u32_e32 v3, vcc, s16, v3
	v_addc_co_u32_e32 v4, vcc, v4, v35, vcc
	global_load_dwordx2 v[12:13], v[3:4], off
	v_add_co_u32_e32 v3, vcc, s16, v3
	v_addc_co_u32_e32 v4, vcc, v4, v35, vcc
	global_load_dwordx2 v[14:15], v[68:69], off offset:1152
	global_load_dwordx2 v[16:17], v[3:4], off
	global_load_dwordx2 v[18:19], v[68:69], off offset:1792
	global_load_dwordx2 v[20:21], v[68:69], off offset:2432
	v_add_co_u32_e32 v3, vcc, s16, v3
	v_addc_co_u32_e32 v4, vcc, v4, v35, vcc
	global_load_dwordx2 v[22:23], v[3:4], off
	v_add_co_u32_e32 v3, vcc, s16, v3
	v_addc_co_u32_e32 v4, vcc, v4, v35, vcc
	global_load_dwordx2 v[24:25], v[68:69], off offset:3072
	global_load_dwordx2 v[26:27], v[3:4], off
	global_load_dwordx2 v[28:29], v[68:69], off offset:3712
	v_add_co_u32_e32 v3, vcc, s16, v3
	v_addc_co_u32_e32 v4, vcc, v4, v35, vcc
	global_load_dwordx2 v[30:31], v[3:4], off
	global_load_dwordx2 v[33:34], v[1:2], off offset:256
	v_add_co_u32_e32 v3, vcc, s16, v3
	v_addc_co_u32_e32 v4, vcc, v4, v35, vcc
	global_load_dwordx2 v[35:36], v[1:2], off offset:896
	global_load_dwordx2 v[37:38], v[3:4], off
	s_waitcnt vmcnt(14)
	v_mul_f32_e32 v1, v7, v9
	v_mul_f32_e32 v2, v6, v9
	v_fmac_f32_e32 v1, v6, v8
	v_fma_f32 v2, v7, v8, -v2
	s_waitcnt vmcnt(11)
	v_mul_f32_e32 v3, v11, v15
	v_mul_f32_e32 v4, v10, v15
	v_fmac_f32_e32 v3, v10, v14
	v_fma_f32 v4, v11, v14, -v4
	s_waitcnt vmcnt(9)
	v_mul_f32_e32 v6, v13, v19
	v_mul_f32_e32 v7, v12, v19
	ds_write2_b64 v97, v[1:2], v[3:4] offset0:64 offset1:144
	s_waitcnt vmcnt(8)
	v_mul_f32_e32 v1, v17, v21
	v_mul_f32_e32 v2, v16, v21
	v_fmac_f32_e32 v6, v12, v18
	v_fma_f32 v7, v13, v18, -v7
	v_fmac_f32_e32 v1, v16, v20
	v_fma_f32 v2, v17, v20, -v2
	s_waitcnt vmcnt(6)
	v_mul_f32_e32 v3, v23, v25
	v_mul_f32_e32 v4, v22, v25
	ds_write2_b64 v0, v[6:7], v[1:2] offset0:96 offset1:176
	s_waitcnt vmcnt(4)
	v_mul_f32_e32 v1, v27, v29
	v_mul_f32_e32 v2, v26, v29
	v_fmac_f32_e32 v3, v22, v24
	v_fma_f32 v4, v23, v24, -v4
	;; [unrolled: 11-line block ×3, first 2 shown]
	v_fmac_f32_e32 v1, v37, v35
	v_fma_f32 v2, v38, v35, -v2
	v_add_u32_e32 v3, 0x1000, v97
	ds_write2_b64 v3, v[6:7], v[1:2] offset0:32 offset1:112
.LBB0_3:
	s_or_b64 exec, exec, s[18:19]
	s_waitcnt lgkmcnt(0)
	s_barrier
	ds_read2_b64 v[20:23], v97 offset0:80 offset1:160
	ds_read2_b64 v[16:19], v0 offset0:112 offset1:192
	;; [unrolled: 1-line block ×3, first 2 shown]
	ds_read_b64 v[30:31], v99
	ds_read_b64 v[28:29], v97 offset:4480
	s_load_dwordx2 s[4:5], s[4:5], 0x8
                                        ; implicit-def: $vgpr14
                                        ; implicit-def: $vgpr10
                                        ; implicit-def: $vgpr6
                                        ; implicit-def: $vgpr2
	s_and_saveexec_b64 s[12:13], s[0:1]
	s_cbranch_execz .LBB0_5
; %bb.4:
	v_add_u32_e32 v4, 0x400, v97
	v_add_u32_e32 v8, 0x800, v97
	;; [unrolled: 1-line block ×3, first 2 shown]
	ds_read2_b64 v[0:3], v97 offset0:64 offset1:144
	ds_read2_b64 v[4:7], v4 offset0:96 offset1:176
	;; [unrolled: 1-line block ×4, first 2 shown]
.LBB0_5:
	s_or_b64 exec, exec, s[12:13]
	s_waitcnt lgkmcnt(0)
	v_sub_f32_e32 v18, v30, v18
	v_sub_f32_e32 v19, v31, v19
	;; [unrolled: 1-line block ×4, first 2 shown]
	v_fma_f32 v30, v30, 2.0, -v18
	v_fma_f32 v31, v31, 2.0, -v19
	;; [unrolled: 1-line block ×4, first 2 shown]
	v_sub_f32_e32 v33, v30, v22
	v_sub_f32_e32 v34, v31, v23
	v_sub_f32_e32 v24, v20, v24
	v_sub_f32_e32 v25, v21, v25
	v_sub_f32_e32 v28, v16, v28
	v_sub_f32_e32 v29, v17, v29
	v_fma_f32 v22, v30, 2.0, -v33
	v_fma_f32 v23, v31, 2.0, -v34
	v_sub_f32_e32 v30, v18, v27
	v_add_f32_e32 v31, v19, v26
	v_fma_f32 v26, v18, 2.0, -v30
	v_fma_f32 v27, v19, 2.0, -v31
	v_sub_f32_e32 v37, v24, v29
	v_add_f32_e32 v38, v25, v28
	v_fma_f32 v20, v20, 2.0, -v24
	v_fma_f32 v21, v21, 2.0, -v25
	;; [unrolled: 1-line block ×6, first 2 shown]
	v_mov_b32_e32 v18, v26
	v_mov_b32_e32 v19, v27
	v_sub_f32_e32 v35, v20, v16
	v_sub_f32_e32 v36, v21, v17
	v_fmac_f32_e32 v18, 0xbf3504f3, v24
	v_fmac_f32_e32 v19, 0xbf3504f3, v25
	v_sub_f32_e32 v8, v0, v8
	v_sub_f32_e32 v9, v1, v9
	;; [unrolled: 1-line block ×4, first 2 shown]
	v_fma_f32 v16, v20, 2.0, -v35
	v_fma_f32 v17, v21, 2.0, -v36
	v_fmac_f32_e32 v18, 0xbf3504f3, v25
	v_fmac_f32_e32 v19, 0x3f3504f3, v24
	v_sub_f32_e32 v24, v33, v36
	v_add_f32_e32 v25, v34, v35
	v_fma_f32 v4, v4, 2.0, -v12
	v_fma_f32 v5, v5, 2.0, -v13
	v_sub_f32_e32 v10, v2, v10
	v_sub_f32_e32 v11, v3, v11
	;; [unrolled: 1-line block ×5, first 2 shown]
	v_add_f32_e32 v12, v12, v9
	v_sub_f32_e32 v16, v22, v16
	v_sub_f32_e32 v17, v23, v17
	v_fma_f32 v28, v33, 2.0, -v24
	v_fma_f32 v29, v34, 2.0, -v25
	;; [unrolled: 1-line block ×10, first 2 shown]
	v_sub_f32_e32 v15, v10, v15
	v_add_f32_e32 v14, v14, v11
	v_mov_b32_e32 v42, v13
	v_mov_b32_e32 v43, v12
	v_fma_f32 v20, v22, 2.0, -v16
	v_fma_f32 v21, v23, 2.0, -v17
	;; [unrolled: 1-line block ×4, first 2 shown]
	v_mov_b32_e32 v26, v30
	v_mov_b32_e32 v27, v31
	v_sub_f32_e32 v4, v0, v4
	v_sub_f32_e32 v5, v1, v5
	;; [unrolled: 1-line block ×4, first 2 shown]
	v_fma_f32 v10, v10, 2.0, -v15
	v_fma_f32 v11, v11, 2.0, -v14
	v_mov_b32_e32 v46, v2
	v_mov_b32_e32 v47, v3
	v_fmac_f32_e32 v42, 0x3f3504f3, v15
	v_fmac_f32_e32 v43, 0x3f3504f3, v14
	;; [unrolled: 1-line block ×4, first 2 shown]
	v_fma_f32 v0, v0, 2.0, -v4
	v_fma_f32 v1, v1, 2.0, -v5
	;; [unrolled: 1-line block ×4, first 2 shown]
	v_fmac_f32_e32 v46, 0xbf3504f3, v10
	v_fmac_f32_e32 v47, 0xbf3504f3, v11
	v_sub_f32_e32 v40, v4, v7
	v_add_f32_e32 v41, v6, v5
	v_fmac_f32_e32 v42, 0xbf3504f3, v14
	v_fmac_f32_e32 v43, 0x3f3504f3, v15
	;; [unrolled: 1-line block ×4, first 2 shown]
	v_sub_f32_e32 v44, v0, v8
	v_sub_f32_e32 v45, v1, v9
	v_fmac_f32_e32 v46, 0xbf3504f3, v11
	v_fmac_f32_e32 v47, 0x3f3504f3, v10
	v_fma_f32 v48, v4, 2.0, -v40
	v_fma_f32 v49, v5, 2.0, -v41
	;; [unrolled: 1-line block ×4, first 2 shown]
	v_add_lshl_u32 v101, v100, v32, 3
	v_lshlrev_b32_e32 v102, 3, v56
	v_fma_f32 v30, v30, 2.0, -v26
	v_fma_f32 v31, v31, 2.0, -v27
	s_barrier
	ds_write_b128 v101, v[20:23]
	ds_write_b128 v101, v[28:31] offset:16
	ds_write_b128 v101, v[16:19] offset:32
	;; [unrolled: 1-line block ×3, first 2 shown]
	s_and_saveexec_b64 s[12:13], s[0:1]
	s_cbranch_execz .LBB0_7
; %bb.6:
	v_fma_f32 v3, v3, 2.0, -v47
	v_fma_f32 v2, v2, 2.0, -v46
	;; [unrolled: 1-line block ×4, first 2 shown]
	v_add_lshl_u32 v4, v100, v102, 3
	ds_write_b128 v4, v[0:3]
	ds_write_b128 v4, v[48:51] offset:16
	ds_write_b128 v4, v[44:47] offset:32
	;; [unrolled: 1-line block ×3, first 2 shown]
.LBB0_7:
	s_or_b64 exec, exec, s[12:13]
	v_mov_b32_e32 v0, s4
	v_and_b32_e32 v36, 7, v98
	s_movk_i32 s12, 0x48
	v_mov_b32_e32 v1, s5
	v_mad_u64_u32 v[16:17], s[12:13], v36, s12, v[0:1]
	s_waitcnt lgkmcnt(0)
	s_barrier
	global_load_dwordx4 v[12:15], v[16:17], off
	global_load_dwordx4 v[8:11], v[16:17], off offset:16
	global_load_dwordx4 v[4:7], v[16:17], off offset:32
	;; [unrolled: 1-line block ×3, first 2 shown]
	global_load_dwordx2 v[87:88], v[16:17], off offset:64
	ds_read_b64 v[32:33], v99
	ds_read2st64_b64 v[16:19], v97 offset0:1 offset1:2
	ds_read2st64_b64 v[20:23], v97 offset0:3 offset1:4
	ds_read2st64_b64 v[24:27], v97 offset0:5 offset1:6
	ds_read2st64_b64 v[28:31], v97 offset0:7 offset1:8
	ds_read_b64 v[34:35], v97 offset:4608
	s_mov_b32 s14, 0x3f737871
	s_mov_b32 s16, 0x3f167918
	;; [unrolled: 1-line block ×4, first 2 shown]
	s_waitcnt vmcnt(0) lgkmcnt(0)
	s_barrier
	v_mul_f32_e32 v37, v17, v13
	v_mul_f32_e32 v39, v19, v15
	v_mul_f32_e32 v38, v16, v13
	v_mul_f32_e32 v52, v18, v15
	v_mul_f32_e32 v55, v23, v11
	v_mul_f32_e32 v58, v25, v5
	v_fma_f32 v37, v16, v12, -v37
	v_fma_f32 v16, v18, v14, -v39
	v_mul_f32_e32 v53, v21, v9
	v_mul_f32_e32 v59, v24, v5
	v_mul_f32_e32 v60, v27, v7
	v_mul_f32_e32 v64, v31, v3
	v_fmac_f32_e32 v52, v19, v14
	v_fma_f32 v18, v22, v10, -v55
	v_fma_f32 v19, v24, v4, -v58
	v_add_f32_e32 v24, v32, v16
	v_mul_f32_e32 v54, v20, v9
	v_mul_f32_e32 v57, v22, v11
	;; [unrolled: 1-line block ×7, first 2 shown]
	v_fmac_f32_e32 v38, v17, v12
	v_fma_f32 v17, v20, v8, -v53
	v_fma_f32 v20, v26, v6, -v60
	;; [unrolled: 1-line block ×3, first 2 shown]
	v_add_f32_e32 v24, v24, v18
	v_mul_f32_e32 v67, v34, v88
	v_fmac_f32_e32 v54, v21, v8
	v_fmac_f32_e32 v57, v23, v10
	v_fmac_f32_e32 v59, v25, v4
	v_fmac_f32_e32 v61, v27, v6
	v_fma_f32 v21, v28, v0, -v62
	v_fmac_f32_e32 v63, v29, v0
	v_fmac_f32_e32 v65, v31, v2
	v_fma_f32 v23, v34, v87, -v66
	v_add_f32_e32 v25, v18, v20
	v_sub_f32_e32 v28, v16, v18
	v_sub_f32_e32 v29, v22, v20
	;; [unrolled: 1-line block ×4, first 2 shown]
	v_add_f32_e32 v24, v24, v20
	v_fma_f32 v39, -0.5, v25, v32
	v_add_f32_e32 v25, v28, v29
	v_add_f32_e32 v28, v31, v34
	;; [unrolled: 1-line block ×4, first 2 shown]
	v_fma_f32 v55, -0.5, v24, v33
	v_add_f32_e32 v30, v16, v22
	v_sub_f32_e32 v16, v16, v22
	v_mov_b32_e32 v53, v55
	v_fmac_f32_e32 v53, 0xbf737871, v16
	v_sub_f32_e32 v18, v18, v20
	v_sub_f32_e32 v20, v52, v57
	;; [unrolled: 1-line block ×3, first 2 shown]
	v_fmac_f32_e32 v55, 0x3f737871, v16
	v_fmac_f32_e32 v53, 0xbf167918, v18
	v_add_f32_e32 v20, v20, v22
	v_fmac_f32_e32 v55, 0x3f167918, v18
	v_fmac_f32_e32 v53, 0x3e9e377a, v20
	;; [unrolled: 1-line block ×3, first 2 shown]
	v_add_f32_e32 v20, v52, v65
	v_fmac_f32_e32 v67, v35, v87
	v_add_f32_e32 v35, v33, v52
	v_fmac_f32_e32 v33, -0.5, v20
	v_mov_b32_e32 v58, v33
	v_fmac_f32_e32 v58, 0x3f737871, v18
	v_fmac_f32_e32 v33, 0xbf737871, v18
	v_fma_f32 v29, -0.5, v30, v32
	v_fmac_f32_e32 v58, 0xbf167918, v16
	v_fmac_f32_e32 v33, 0x3f167918, v16
	v_add_f32_e32 v16, v37, v17
	v_sub_f32_e32 v26, v52, v65
	v_sub_f32_e32 v27, v57, v61
	v_mov_b32_e32 v31, v39
	v_mov_b32_e32 v32, v29
	v_add_f32_e32 v16, v16, v19
	v_fmac_f32_e32 v39, 0xbf737871, v26
	v_fmac_f32_e32 v29, 0x3f737871, v27
	;; [unrolled: 1-line block ×4, first 2 shown]
	v_add_f32_e32 v16, v16, v21
	v_fmac_f32_e32 v39, 0xbf167918, v27
	v_fmac_f32_e32 v29, 0xbf167918, v26
	;; [unrolled: 1-line block ×4, first 2 shown]
	v_add_f32_e32 v26, v16, v23
	v_add_f32_e32 v16, v19, v21
	v_fmac_f32_e32 v39, 0x3e9e377a, v25
	v_fmac_f32_e32 v31, 0x3e9e377a, v25
	v_sub_f32_e32 v20, v57, v52
	v_sub_f32_e32 v22, v61, v65
	v_fma_f32 v25, -0.5, v16, v37
	v_add_f32_e32 v20, v20, v22
	v_sub_f32_e32 v16, v54, v67
	v_mov_b32_e32 v27, v25
	v_fmac_f32_e32 v58, 0x3e9e377a, v20
	v_fmac_f32_e32 v33, 0x3e9e377a, v20
	;; [unrolled: 1-line block ×3, first 2 shown]
	v_sub_f32_e32 v18, v59, v63
	v_sub_f32_e32 v20, v17, v19
	;; [unrolled: 1-line block ×3, first 2 shown]
	v_fmac_f32_e32 v25, 0xbf737871, v16
	v_fmac_f32_e32 v27, 0x3f167918, v18
	v_add_f32_e32 v20, v20, v22
	v_fmac_f32_e32 v25, 0xbf167918, v18
	v_fmac_f32_e32 v27, 0x3e9e377a, v20
	;; [unrolled: 1-line block ×3, first 2 shown]
	v_add_f32_e32 v20, v17, v23
	v_fmac_f32_e32 v37, -0.5, v20
	v_fmac_f32_e32 v29, 0x3e9e377a, v28
	v_fmac_f32_e32 v32, 0x3e9e377a, v28
	v_mov_b32_e32 v28, v37
	v_fmac_f32_e32 v28, 0xbf737871, v18
	v_fmac_f32_e32 v37, 0x3f737871, v18
	;; [unrolled: 1-line block ×4, first 2 shown]
	v_add_f32_e32 v16, v38, v54
	v_add_f32_e32 v16, v16, v59
	v_add_f32_e32 v30, v35, v57
	v_add_f32_e32 v16, v16, v63
	v_add_f32_e32 v30, v30, v61
	v_add_f32_e32 v57, v16, v67
	v_add_f32_e32 v16, v59, v63
	v_add_f32_e32 v35, v30, v65
	v_fma_f32 v30, -0.5, v16, v38
	v_sub_f32_e32 v22, v21, v23
	v_sub_f32_e32 v16, v17, v23
	v_mov_b32_e32 v23, v30
	v_sub_f32_e32 v20, v19, v17
	v_fmac_f32_e32 v23, 0xbf737871, v16
	v_sub_f32_e32 v17, v19, v21
	v_sub_f32_e32 v18, v54, v59
	;; [unrolled: 1-line block ×3, first 2 shown]
	v_fmac_f32_e32 v30, 0x3f737871, v16
	v_fmac_f32_e32 v23, 0xbf167918, v17
	v_add_f32_e32 v18, v18, v19
	v_fmac_f32_e32 v30, 0x3f167918, v17
	v_fmac_f32_e32 v23, 0x3e9e377a, v18
	;; [unrolled: 1-line block ×3, first 2 shown]
	v_add_f32_e32 v18, v54, v67
	v_fmac_f32_e32 v38, -0.5, v18
	v_mov_b32_e32 v21, v38
	v_fmac_f32_e32 v21, 0x3f737871, v17
	v_sub_f32_e32 v18, v59, v54
	v_sub_f32_e32 v19, v63, v67
	v_add_f32_e32 v20, v20, v22
	v_fmac_f32_e32 v21, 0xbf167918, v16
	v_add_f32_e32 v18, v18, v19
	v_fmac_f32_e32 v38, 0xbf737871, v17
	v_fmac_f32_e32 v37, 0x3e9e377a, v20
	v_fmac_f32_e32 v21, 0x3e9e377a, v18
	v_fmac_f32_e32 v38, 0x3f167918, v16
	v_fmac_f32_e32 v28, 0x3e9e377a, v20
	v_fmac_f32_e32 v38, 0x3e9e377a, v18
	v_mul_f32_e32 v54, 0x3f737871, v21
	v_mul_f32_e32 v17, 0x3e9e377a, v37
	;; [unrolled: 1-line block ×3, first 2 shown]
	v_fmac_f32_e32 v54, 0x3e9e377a, v28
	v_fma_f32 v59, v38, s14, -v17
	v_mul_f32_e32 v17, 0x3f4f1bbd, v25
	v_fmac_f32_e32 v52, 0x3f4f1bbd, v27
	v_add_f32_e32 v20, v32, v54
	v_fma_f32 v60, v30, s16, -v17
	v_mul_f32_e32 v61, 0xbf167918, v27
	v_mul_f32_e32 v27, 0x3f4f1bbd, v30
	v_sub_f32_e32 v30, v32, v54
	v_lshrrev_b32_e32 v32, 3, v98
	v_fmac_f32_e32 v61, 0x3f4f1bbd, v23
	v_mul_f32_e32 v62, 0xbf737871, v28
	v_mul_f32_e32 v23, 0x3e9e377a, v38
	v_mul_u32_u24_e32 v32, 0x50, v32
	v_fmac_f32_e32 v62, 0x3e9e377a, v21
	v_fma_f32 v37, v37, s12, -v23
	v_fma_f32 v38, v25, s13, -v27
	v_or_b32_e32 v32, v32, v36
	v_add_f32_e32 v16, v34, v26
	v_add_f32_e32 v18, v31, v52
	v_add_f32_e32 v22, v29, v59
	v_add_f32_e32 v24, v39, v60
	v_add_f32_e32 v17, v35, v57
	v_add_f32_e32 v19, v53, v61
	v_add_f32_e32 v21, v58, v62
	v_add_f32_e32 v23, v33, v37
	v_add_f32_e32 v25, v55, v38
	v_sub_f32_e32 v26, v34, v26
	v_sub_f32_e32 v28, v31, v52
	;; [unrolled: 1-line block ×6, first 2 shown]
	v_add_lshl_u32 v103, v100, v32, 3
	v_add_u32_e32 v62, 0x400, v97
	v_add_u32_e32 v61, 0x800, v97
	v_sub_f32_e32 v54, v39, v60
	v_sub_f32_e32 v53, v33, v37
	v_sub_f32_e32 v55, v55, v38
	ds_write2_b64 v103, v[16:17], v[18:19] offset1:8
	ds_write2_b64 v103, v[20:21], v[22:23] offset0:16 offset1:24
	ds_write2_b64 v103, v[24:25], v[26:27] offset0:32 offset1:40
	;; [unrolled: 1-line block ×4, first 2 shown]
	s_waitcnt lgkmcnt(0)
	s_barrier
	ds_read2_b64 v[24:27], v97 offset0:80 offset1:160
	ds_read2_b64 v[20:23], v62 offset0:112 offset1:192
	;; [unrolled: 1-line block ×3, first 2 shown]
	ds_read_b64 v[57:58], v99
	ds_read_b64 v[59:60], v97 offset:4480
	s_and_saveexec_b64 s[12:13], s[0:1]
	s_cbranch_execz .LBB0_9
; %bb.8:
	ds_read2_b64 v[52:55], v97 offset0:64 offset1:144
	ds_read2_b64 v[48:51], v62 offset0:96 offset1:176
	;; [unrolled: 1-line block ×3, first 2 shown]
	v_add_u32_e32 v28, 0x1000, v97
	ds_read2_b64 v[40:43], v28 offset0:32 offset1:112
.LBB0_9:
	s_or_b64 exec, exec, s[12:13]
	v_mad_u64_u32 v[63:64], s[12:13], v98, 56, s[4:5]
	global_load_dwordx2 v[91:92], v[63:64], off offset:624
	global_load_dwordx4 v[28:31], v[63:64], off offset:608
	global_load_dwordx4 v[32:35], v[63:64], off offset:592
	;; [unrolled: 1-line block ×3, first 2 shown]
	s_waitcnt vmcnt(3) lgkmcnt(0)
	v_mul_f32_e32 v108, v59, v92
	s_waitcnt vmcnt(2)
	v_mul_f32_e32 v104, v16, v29
	s_waitcnt vmcnt(1)
	;; [unrolled: 2-line block ×3, first 2 shown]
	v_mul_f32_e32 v63, v25, v37
	v_fma_f32 v63, v24, v36, -v63
	v_mul_f32_e32 v64, v24, v37
	v_mul_f32_e32 v24, v27, v39
	v_fma_f32 v65, v26, v38, -v24
	v_mul_f32_e32 v24, v21, v33
	v_fma_f32 v67, v20, v32, -v24
	;; [unrolled: 2-line block ×6, first 2 shown]
	v_add_u32_e32 v16, -16, v98
	v_cndmask_b32_e64 v16, v16, v56, s[0:1]
	v_fmac_f32_e32 v104, v17, v28
	v_mul_hi_i32_i24_e32 v17, 56, v16
	v_mul_i32_i24_e32 v16, 56, v16
	v_add_co_u32_e32 v59, vcc, s4, v16
	v_mov_b32_e32 v16, s5
	v_mul_f32_e32 v66, v26, v39
	v_mul_f32_e32 v95, v22, v35
	;; [unrolled: 1-line block ×3, first 2 shown]
	v_fmac_f32_e32 v108, v60, v91
	v_addc_co_u32_e32 v60, vcc, v16, v17, vcc
	v_fmac_f32_e32 v64, v25, v36
	v_fmac_f32_e32 v66, v27, v38
	;; [unrolled: 1-line block ×5, first 2 shown]
	global_load_dwordx2 v[89:90], v[59:60], off offset:624
	global_load_dwordx4 v[20:23], v[59:60], off offset:608
	global_load_dwordx4 v[16:19], v[59:60], off offset:592
	;; [unrolled: 1-line block ×3, first 2 shown]
	v_sub_f32_e32 v59, v65, v105
	v_sub_f32_e32 v105, v93, v108
	v_fma_f32 v65, v65, 2.0, -v59
	v_fma_f32 v93, v93, 2.0, -v105
	s_waitcnt vmcnt(0)
	v_mul_f32_e32 v56, v55, v25
	v_fma_f32 v60, v54, v24, -v56
	v_mul_f32_e32 v54, v54, v25
	v_fmac_f32_e32 v54, v55, v24
	v_mul_f32_e32 v55, v49, v27
	v_fma_f32 v55, v48, v26, -v55
	v_mul_f32_e32 v48, v48, v27
	v_fmac_f32_e32 v48, v49, v26
	v_mul_f32_e32 v49, v51, v17
	v_fma_f32 v49, v50, v16, -v49
	v_mul_f32_e32 v50, v50, v17
	v_fmac_f32_e32 v50, v51, v16
	v_mul_f32_e32 v51, v45, v19
	v_fma_f32 v51, v44, v18, -v51
	v_mul_f32_e32 v44, v44, v19
	v_fmac_f32_e32 v44, v45, v18
	v_mul_f32_e32 v45, v47, v21
	v_fma_f32 v45, v46, v20, -v45
	v_mul_f32_e32 v46, v46, v21
	v_fmac_f32_e32 v46, v47, v20
	v_mul_f32_e32 v47, v41, v23
	v_fma_f32 v47, v40, v22, -v47
	v_mul_f32_e32 v40, v40, v23
	v_fmac_f32_e32 v40, v41, v22
	v_mul_f32_e32 v41, v43, v90
	v_fma_f32 v41, v42, v89, -v41
	v_mul_f32_e32 v42, v42, v90
	v_fmac_f32_e32 v42, v43, v89
	v_sub_f32_e32 v43, v57, v94
	v_sub_f32_e32 v56, v58, v95
	v_sub_f32_e32 v94, v66, v106
	v_sub_f32_e32 v95, v63, v96
	v_sub_f32_e32 v96, v64, v104
	v_sub_f32_e32 v104, v67, v107
	v_fma_f32 v63, v63, 2.0, -v95
	v_fma_f32 v67, v67, 2.0, -v104
	v_sub_f32_e32 v108, v43, v94
	v_fma_f32 v57, v57, 2.0, -v43
	v_fma_f32 v64, v64, 2.0, -v96
	v_add_f32_e32 v109, v56, v59
	v_fma_f32 v43, v43, 2.0, -v108
	v_sub_f32_e32 v67, v63, v67
	v_sub_f32_e32 v110, v95, v105
	v_fma_f32 v58, v58, 2.0, -v56
	v_fma_f32 v66, v66, 2.0, -v94
	v_sub_f32_e32 v106, v57, v65
	v_fma_f32 v94, v56, 2.0, -v109
	v_sub_f32_e32 v93, v64, v93
	v_fma_f32 v56, v63, 2.0, -v67
	v_add_f32_e32 v111, v96, v104
	v_fma_f32 v95, v95, 2.0, -v110
	v_mov_b32_e32 v63, v43
	v_sub_f32_e32 v107, v58, v66
	v_fma_f32 v65, v57, 2.0, -v106
	v_fma_f32 v57, v64, 2.0, -v93
	;; [unrolled: 1-line block ×3, first 2 shown]
	v_fmac_f32_e32 v63, 0xbf3504f3, v95
	v_mov_b32_e32 v64, v94
	v_fma_f32 v66, v58, 2.0, -v107
	v_sub_f32_e32 v56, v65, v56
	v_fmac_f32_e32 v64, 0xbf3504f3, v96
	v_fmac_f32_e32 v63, 0xbf3504f3, v96
	v_mov_b32_e32 v104, v108
	v_mov_b32_e32 v105, v109
	v_sub_f32_e32 v57, v66, v57
	v_fma_f32 v58, v65, 2.0, -v56
	v_fmac_f32_e32 v64, 0x3f3504f3, v95
	v_fma_f32 v65, v43, 2.0, -v63
	v_fmac_f32_e32 v104, 0x3f3504f3, v110
	v_fmac_f32_e32 v105, 0x3f3504f3, v111
	v_sub_f32_e32 v43, v52, v51
	v_sub_f32_e32 v44, v53, v44
	;; [unrolled: 1-line block ×6, first 2 shown]
	v_fma_f32 v59, v66, 2.0, -v57
	v_fma_f32 v66, v94, 2.0, -v64
	v_sub_f32_e32 v93, v106, v93
	v_add_f32_e32 v94, v107, v67
	v_fmac_f32_e32 v104, 0xbf3504f3, v111
	v_fmac_f32_e32 v105, 0x3f3504f3, v110
	v_fma_f32 v51, v52, 2.0, -v43
	v_fma_f32 v52, v53, 2.0, -v44
	;; [unrolled: 1-line block ×4, first 2 shown]
	v_sub_f32_e32 v45, v60, v45
	v_fma_f32 v54, v54, 2.0, -v46
	v_fma_f32 v50, v50, 2.0, -v42
	;; [unrolled: 1-line block ×7, first 2 shown]
	v_sub_f32_e32 v41, v49, v41
	v_sub_f32_e32 v60, v51, v53
	;; [unrolled: 1-line block ×4, first 2 shown]
	v_add_f32_e32 v109, v44, v47
	v_sub_f32_e32 v50, v54, v50
	v_fma_f32 v49, v49, 2.0, -v41
	v_fma_f32 v48, v51, 2.0, -v60
	;; [unrolled: 1-line block ×6, first 2 shown]
	v_sub_f32_e32 v110, v45, v42
	v_add_f32_e32 v111, v46, v41
	v_sub_f32_e32 v49, v55, v49
	v_fma_f32 v42, v45, 2.0, -v110
	v_fma_f32 v53, v46, 2.0, -v111
	v_sub_f32_e32 v45, v51, v47
	v_mov_b32_e32 v46, v43
	v_mov_b32_e32 v47, v52
	v_fma_f32 v40, v55, 2.0, -v49
	v_fmac_f32_e32 v46, 0xbf3504f3, v42
	v_fmac_f32_e32 v47, 0xbf3504f3, v53
	v_mov_b32_e32 v54, v108
	v_mov_b32_e32 v55, v109
	v_fmac_f32_e32 v46, 0xbf3504f3, v53
	v_fmac_f32_e32 v47, 0x3f3504f3, v42
	;; [unrolled: 1-line block ×4, first 2 shown]
	v_sub_f32_e32 v44, v48, v40
	v_fma_f32 v42, v43, 2.0, -v46
	v_fma_f32 v43, v52, 2.0, -v47
	v_sub_f32_e32 v52, v60, v50
	v_add_f32_e32 v53, v67, v49
	v_fmac_f32_e32 v54, 0xbf3504f3, v111
	v_fmac_f32_e32 v55, 0x3f3504f3, v110
	v_fma_f32 v40, v48, 2.0, -v44
	v_fma_f32 v41, v51, 2.0, -v45
	;; [unrolled: 1-line block ×6, first 2 shown]
	ds_write_b64 v99, v[58:59]
	ds_write2_b64 v97, v[65:66], v[95:96] offset0:80 offset1:160
	ds_write2_b64 v62, v[106:107], v[56:57] offset0:112 offset1:192
	;; [unrolled: 1-line block ×3, first 2 shown]
	ds_write_b64 v97, v[104:105] offset:4480
	s_and_saveexec_b64 s[4:5], s[0:1]
	s_cbranch_execz .LBB0_11
; %bb.10:
	v_add_u32_e32 v56, 0x400, v97
	ds_write2_b64 v56, v[48:49], v[50:51] offset0:96 offset1:176
	v_add_u32_e32 v56, 0x800, v97
	ds_write2_b64 v56, v[44:45], v[46:47] offset0:128 offset1:208
	;; [unrolled: 2-line block ×3, first 2 shown]
	ds_write2_b64 v56, v[52:53], v[54:55] offset0:32 offset1:112
.LBB0_11:
	s_or_b64 exec, exec, s[4:5]
	v_mov_b32_e32 v56, s15
	v_addc_co_u32_e64 v62, vcc, 0, v56, s[2:3]
	v_add_co_u32_e32 v56, vcc, 0x1400, v68
	s_mov_b64 s[2:3], vcc
	v_add_co_u32_e32 v57, vcc, 0x1000, v68
	v_addc_co_u32_e32 v58, vcc, 0, v62, vcc
	s_waitcnt lgkmcnt(0)
	s_barrier
	global_load_dwordx2 v[59:60], v[57:58], off offset:1024
	v_addc_co_u32_e64 v57, vcc, 0, v62, s[2:3]
	v_add_co_u32_e32 v61, vcc, 0x2000, v68
	v_addc_co_u32_e32 v62, vcc, 0, v62, vcc
	global_load_dwordx2 v[65:66], v[56:57], off offset:640
	global_load_dwordx2 v[108:109], v[56:57], off offset:1280
	;; [unrolled: 1-line block ×7, first 2 shown]
	ds_read_b64 v[61:62], v99
	v_add_u32_e32 v58, 0x400, v97
	s_movk_i32 s4, 0x1000
	s_waitcnt vmcnt(7) lgkmcnt(0)
	v_mul_f32_e32 v63, v62, v60
	v_mul_f32_e32 v64, v61, v60
	v_fma_f32 v63, v61, v59, -v63
	v_fmac_f32_e32 v64, v62, v59
	ds_write_b64 v99, v[63:64]
	ds_read2_b64 v[59:62], v97 offset0:80 offset1:160
	v_add_u32_e32 v64, 0x800, v97
	ds_read2_b64 v[93:96], v58 offset0:112 offset1:192
	ds_read2_b64 v[104:107], v64 offset0:144 offset1:224
	ds_read_b64 v[120:121], v97 offset:4480
	s_waitcnt vmcnt(6) lgkmcnt(3)
	v_mul_f32_e32 v122, v60, v66
	v_mul_f32_e32 v67, v59, v66
	s_waitcnt vmcnt(5)
	v_mul_f32_e32 v124, v62, v109
	v_mul_f32_e32 v123, v61, v109
	s_waitcnt vmcnt(4) lgkmcnt(2)
	v_mul_f32_e32 v125, v94, v111
	v_mul_f32_e32 v63, v93, v111
	s_waitcnt vmcnt(3)
	v_mul_f32_e32 v126, v96, v113
	v_mul_f32_e32 v109, v95, v113
	;; [unrolled: 6-line block ×3, first 2 shown]
	s_waitcnt lgkmcnt(0)
	v_mul_f32_e32 v119, v121, v117
	v_mul_f32_e32 v115, v120, v117
	v_fma_f32 v66, v59, v65, -v122
	v_fmac_f32_e32 v67, v60, v65
	v_fma_f32 v122, v61, v108, -v124
	v_fmac_f32_e32 v123, v62, v108
	;; [unrolled: 2-line block ×7, first 2 shown]
	ds_write2_b64 v97, v[66:67], v[122:123] offset0:80 offset1:160
	ds_write2_b64 v58, v[62:63], v[108:109] offset0:112 offset1:192
	;; [unrolled: 1-line block ×3, first 2 shown]
	ds_write_b64 v97, v[114:115] offset:4480
	s_and_saveexec_b64 s[2:3], s[0:1]
	s_cbranch_execz .LBB0_13
; %bb.12:
	global_load_dwordx2 v[65:66], v[56:57], off offset:512
	ds_read2_b64 v[59:62], v97 offset0:64 offset1:144
	s_waitcnt vmcnt(0) lgkmcnt(0)
	v_mul_f32_e32 v63, v60, v66
	v_mul_f32_e32 v94, v59, v66
	v_fma_f32 v93, v59, v65, -v63
	v_fmac_f32_e32 v94, v60, v65
	global_load_dwordx2 v[59:60], v[56:57], off offset:1152
	s_waitcnt vmcnt(0)
	v_mul_f32_e32 v63, v62, v60
	v_mul_f32_e32 v66, v61, v60
	v_fma_f32 v65, v61, v59, -v63
	v_fmac_f32_e32 v66, v62, v59
	ds_write2_b64 v97, v[93:94], v[65:66] offset0:64 offset1:144
	global_load_dwordx2 v[65:66], v[56:57], off offset:1792
	ds_read2_b64 v[59:62], v58 offset0:96 offset1:176
	s_waitcnt vmcnt(0) lgkmcnt(0)
	v_mul_f32_e32 v63, v60, v66
	v_mul_f32_e32 v94, v59, v66
	v_fma_f32 v93, v59, v65, -v63
	v_fmac_f32_e32 v94, v60, v65
	global_load_dwordx2 v[59:60], v[56:57], off offset:2432
	s_waitcnt vmcnt(0)
	v_mul_f32_e32 v63, v62, v60
	v_mul_f32_e32 v66, v61, v60
	v_fma_f32 v65, v61, v59, -v63
	v_fmac_f32_e32 v66, v62, v59
	ds_write2_b64 v58, v[93:94], v[65:66] offset0:96 offset1:176
	global_load_dwordx2 v[65:66], v[56:57], off offset:3072
	ds_read2_b64 v[59:62], v64 offset0:128 offset1:208
	s_waitcnt vmcnt(0) lgkmcnt(0)
	v_mul_f32_e32 v63, v60, v66
	v_mul_f32_e32 v94, v59, v66
	v_fma_f32 v93, v59, v65, -v63
	v_fmac_f32_e32 v94, v60, v65
	global_load_dwordx2 v[59:60], v[56:57], off offset:3712
	v_add_co_u32_e32 v56, vcc, s4, v56
	v_addc_co_u32_e32 v57, vcc, 0, v57, vcc
	s_waitcnt vmcnt(0)
	v_mul_f32_e32 v63, v62, v60
	v_mul_f32_e32 v66, v61, v60
	v_fma_f32 v65, v61, v59, -v63
	v_fmac_f32_e32 v66, v62, v59
	ds_write2_b64 v64, v[93:94], v[65:66] offset0:128 offset1:208
	global_load_dwordx2 v[65:66], v[56:57], off offset:256
	v_add_u32_e32 v63, 0x1000, v97
	global_load_dwordx2 v[56:57], v[56:57], off offset:896
	ds_read2_b64 v[59:62], v63 offset0:32 offset1:112
	s_waitcnt vmcnt(1) lgkmcnt(0)
	v_mul_f32_e32 v67, v60, v66
	v_mul_f32_e32 v94, v59, v66
	v_fma_f32 v93, v59, v65, -v67
	v_fmac_f32_e32 v94, v60, v65
	s_waitcnt vmcnt(0)
	v_mul_f32_e32 v59, v62, v57
	v_mul_f32_e32 v60, v61, v57
	v_fma_f32 v59, v61, v56, -v59
	v_fmac_f32_e32 v60, v62, v56
	ds_write2_b64 v63, v[93:94], v[59:60] offset0:32 offset1:112
.LBB0_13:
	s_or_b64 exec, exec, s[2:3]
	s_waitcnt lgkmcnt(0)
	s_barrier
	ds_read2_b64 v[60:63], v97 offset0:80 offset1:160
	ds_read2_b64 v[56:59], v58 offset0:112 offset1:192
	;; [unrolled: 1-line block ×3, first 2 shown]
	ds_read_b64 v[95:96], v99
	ds_read_b64 v[93:94], v97 offset:4480
	s_and_saveexec_b64 s[2:3], s[0:1]
	s_cbranch_execz .LBB0_15
; %bb.14:
	v_add_u32_e32 v44, 0x400, v97
	ds_read2_b64 v[48:51], v44 offset0:96 offset1:176
	v_add_u32_e32 v44, 0x800, v97
	v_add_u32_e32 v52, 0x1000, v97
	ds_read2_b64 v[40:43], v97 offset0:64 offset1:144
	ds_read2_b64 v[44:47], v44 offset0:128 offset1:208
	;; [unrolled: 1-line block ×3, first 2 shown]
.LBB0_15:
	s_or_b64 exec, exec, s[2:3]
	s_waitcnt lgkmcnt(1)
	v_sub_f32_e32 v58, v95, v58
	v_sub_f32_e32 v59, v96, v59
	;; [unrolled: 1-line block ×4, first 2 shown]
	v_fma_f32 v95, v95, 2.0, -v58
	v_fma_f32 v96, v96, 2.0, -v59
	;; [unrolled: 1-line block ×4, first 2 shown]
	v_sub_f32_e32 v104, v95, v62
	v_sub_f32_e32 v105, v96, v63
	;; [unrolled: 1-line block ×4, first 2 shown]
	s_waitcnt lgkmcnt(0)
	v_sub_f32_e32 v93, v56, v93
	v_sub_f32_e32 v94, v57, v94
	v_fma_f32 v62, v95, 2.0, -v104
	v_fma_f32 v63, v96, 2.0, -v105
	v_add_f32_e32 v95, v58, v67
	v_sub_f32_e32 v96, v59, v66
	v_fma_f32 v60, v60, 2.0, -v64
	v_fma_f32 v61, v61, 2.0, -v65
	v_fma_f32 v56, v56, 2.0, -v93
	v_fma_f32 v57, v57, 2.0, -v94
	v_fma_f32 v66, v58, 2.0, -v95
	v_fma_f32 v67, v59, 2.0, -v96
	v_add_f32_e32 v108, v64, v94
	v_sub_f32_e32 v109, v65, v93
	v_sub_f32_e32 v106, v60, v56
	v_sub_f32_e32 v107, v61, v57
	v_fma_f32 v64, v64, 2.0, -v108
	v_fma_f32 v65, v65, 2.0, -v109
	v_mov_b32_e32 v58, v66
	v_mov_b32_e32 v59, v67
	v_fma_f32 v56, v60, 2.0, -v106
	v_fma_f32 v57, v61, 2.0, -v107
	v_fmac_f32_e32 v58, 0xbf3504f3, v64
	v_fmac_f32_e32 v59, 0xbf3504f3, v65
	v_sub_f32_e32 v56, v62, v56
	v_sub_f32_e32 v57, v63, v57
	v_fmac_f32_e32 v58, 0x3f3504f3, v65
	v_fmac_f32_e32 v59, 0xbf3504f3, v64
	v_add_f32_e32 v64, v104, v107
	v_sub_f32_e32 v65, v105, v106
	v_fma_f32 v60, v62, 2.0, -v56
	v_fma_f32 v61, v63, 2.0, -v57
	;; [unrolled: 1-line block ×6, first 2 shown]
	v_mov_b32_e32 v66, v95
	v_mov_b32_e32 v67, v96
	v_sub_f32_e32 v44, v40, v44
	v_sub_f32_e32 v45, v41, v45
	;; [unrolled: 1-line block ×8, first 2 shown]
	v_fmac_f32_e32 v66, 0x3f3504f3, v108
	v_fmac_f32_e32 v67, 0x3f3504f3, v109
	v_fma_f32 v40, v40, 2.0, -v44
	v_fma_f32 v41, v41, 2.0, -v45
	;; [unrolled: 1-line block ×8, first 2 shown]
	v_add_f32_e32 v105, v105, v44
	v_sub_f32_e32 v104, v45, v104
	v_fmac_f32_e32 v66, 0x3f3504f3, v109
	v_fmac_f32_e32 v67, 0xbf3504f3, v108
	v_sub_f32_e32 v108, v40, v48
	v_sub_f32_e32 v109, v41, v49
	v_fma_f32 v54, v44, 2.0, -v105
	v_fma_f32 v55, v45, 2.0, -v104
	v_sub_f32_e32 v44, v42, v50
	v_sub_f32_e32 v45, v43, v51
	v_add_f32_e32 v107, v107, v46
	v_sub_f32_e32 v106, v47, v106
	v_mov_b32_e32 v50, v105
	v_mov_b32_e32 v51, v104
	v_fma_f32 v52, v40, 2.0, -v108
	v_fma_f32 v53, v41, 2.0, -v109
	;; [unrolled: 1-line block ×6, first 2 shown]
	v_mov_b32_e32 v42, v54
	v_mov_b32_e32 v43, v55
	v_fmac_f32_e32 v50, 0x3f3504f3, v107
	v_fmac_f32_e32 v51, 0x3f3504f3, v106
	;; [unrolled: 1-line block ×4, first 2 shown]
	v_add_f32_e32 v48, v45, v108
	v_sub_f32_e32 v49, v109, v44
	v_fmac_f32_e32 v50, 0x3f3504f3, v106
	v_fmac_f32_e32 v51, 0xbf3504f3, v107
	v_sub_f32_e32 v40, v52, v40
	v_sub_f32_e32 v41, v53, v41
	v_fmac_f32_e32 v42, 0x3f3504f3, v47
	v_fmac_f32_e32 v43, 0xbf3504f3, v46
	v_fma_f32 v44, v108, 2.0, -v48
	v_fma_f32 v45, v109, 2.0, -v49
	;; [unrolled: 1-line block ×6, first 2 shown]
	s_barrier
	ds_write_b128 v101, v[60:63]
	ds_write_b128 v101, v[93:96] offset:16
	ds_write_b128 v101, v[56:59] offset:32
	;; [unrolled: 1-line block ×3, first 2 shown]
	s_and_saveexec_b64 s[2:3], s[0:1]
	s_cbranch_execz .LBB0_17
; %bb.16:
	v_fma_f32 v55, v55, 2.0, -v43
	v_fma_f32 v54, v54, 2.0, -v42
	;; [unrolled: 1-line block ×4, first 2 shown]
	v_add_lshl_u32 v56, v100, v102, 3
	ds_write_b128 v56, v[52:55]
	ds_write_b128 v56, v[44:47] offset:16
	ds_write_b128 v56, v[40:43] offset:32
	;; [unrolled: 1-line block ×3, first 2 shown]
.LBB0_17:
	s_or_b64 exec, exec, s[2:3]
	s_waitcnt lgkmcnt(0)
	s_barrier
	ds_read_b64 v[93:94], v99
	ds_read2st64_b64 v[52:55], v97 offset0:1 offset1:2
	ds_read2st64_b64 v[56:59], v97 offset0:3 offset1:4
	;; [unrolled: 1-line block ×4, first 2 shown]
	ds_read_b64 v[95:96], v97 offset:4608
	s_waitcnt lgkmcnt(4)
	v_mul_f32_e32 v100, v13, v53
	v_mul_f32_e32 v13, v13, v52
	v_fmac_f32_e32 v100, v12, v52
	v_fma_f32 v13, v12, v53, -v13
	v_mul_f32_e32 v12, v15, v55
	v_mul_f32_e32 v15, v15, v54
	v_fmac_f32_e32 v12, v14, v54
	v_fma_f32 v14, v14, v55, -v15
	s_waitcnt lgkmcnt(3)
	v_mul_f32_e32 v15, v9, v57
	v_mul_f32_e32 v9, v9, v56
	v_fmac_f32_e32 v15, v8, v56
	v_fma_f32 v8, v8, v57, -v9
	v_mul_f32_e32 v9, v11, v59
	v_mul_f32_e32 v11, v11, v58
	v_fmac_f32_e32 v9, v10, v58
	v_fma_f32 v10, v10, v59, -v11
	;; [unrolled: 9-line block ×3, first 2 shown]
	s_waitcnt lgkmcnt(1)
	v_mul_f32_e32 v7, v1, v65
	v_mul_f32_e32 v1, v1, v64
	v_fmac_f32_e32 v7, v0, v64
	v_fma_f32 v0, v0, v65, -v1
	v_mul_f32_e32 v1, v3, v67
	v_mul_f32_e32 v3, v3, v66
	v_add_f32_e32 v54, v9, v5
	v_fmac_f32_e32 v1, v2, v66
	v_fma_f32 v2, v2, v67, -v3
	v_fma_f32 v55, -0.5, v54, v93
	v_sub_f32_e32 v54, v14, v2
	v_mov_b32_e32 v56, v55
	v_fmac_f32_e32 v56, 0xbf737871, v54
	v_sub_f32_e32 v57, v10, v6
	v_sub_f32_e32 v58, v12, v9
	v_sub_f32_e32 v59, v1, v5
	v_fmac_f32_e32 v55, 0x3f737871, v54
	v_fmac_f32_e32 v56, 0xbf167918, v57
	v_add_f32_e32 v58, v58, v59
	v_fmac_f32_e32 v55, 0x3f167918, v57
	v_fmac_f32_e32 v56, 0x3e9e377a, v58
	;; [unrolled: 1-line block ×3, first 2 shown]
	v_add_f32_e32 v58, v12, v1
	v_fma_f32 v58, -0.5, v58, v93
	v_mov_b32_e32 v59, v58
	v_fmac_f32_e32 v59, 0x3f737871, v57
	v_fmac_f32_e32 v58, 0xbf737871, v57
	;; [unrolled: 1-line block ×4, first 2 shown]
	v_add_f32_e32 v54, v94, v14
	v_add_f32_e32 v54, v54, v10
	;; [unrolled: 1-line block ×3, first 2 shown]
	v_sub_f32_e32 v60, v9, v12
	v_sub_f32_e32 v61, v5, v1
	v_add_f32_e32 v54, v54, v6
	v_add_f32_e32 v53, v53, v9
	;; [unrolled: 1-line block ×6, first 2 shown]
	v_fmac_f32_e32 v59, 0x3e9e377a, v60
	v_fmac_f32_e32 v58, 0x3e9e377a, v60
	v_fma_f32 v60, -0.5, v54, v94
	v_add_f32_e32 v53, v53, v1
	v_sub_f32_e32 v1, v12, v1
	v_mov_b32_e32 v61, v60
	v_fmac_f32_e32 v61, 0x3f737871, v1
	v_sub_f32_e32 v5, v9, v5
	v_sub_f32_e32 v9, v14, v10
	;; [unrolled: 1-line block ×3, first 2 shown]
	v_fmac_f32_e32 v60, 0xbf737871, v1
	v_fmac_f32_e32 v61, 0x3f167918, v5
	v_add_f32_e32 v9, v9, v12
	v_fmac_f32_e32 v60, 0xbf167918, v5
	v_fmac_f32_e32 v61, 0x3e9e377a, v9
	;; [unrolled: 1-line block ×3, first 2 shown]
	v_add_f32_e32 v9, v14, v2
	v_fmac_f32_e32 v94, -0.5, v9
	v_mov_b32_e32 v62, v94
	v_fmac_f32_e32 v62, 0xbf737871, v5
	v_sub_f32_e32 v9, v10, v14
	v_sub_f32_e32 v2, v6, v2
	v_fmac_f32_e32 v94, 0x3f737871, v5
	v_fmac_f32_e32 v62, 0x3f167918, v1
	v_add_f32_e32 v2, v9, v2
	v_fmac_f32_e32 v94, 0xbf167918, v1
	s_waitcnt lgkmcnt(0)
	v_mul_f32_e32 v52, v88, v95
	v_fmac_f32_e32 v62, 0x3e9e377a, v2
	v_fmac_f32_e32 v94, 0x3e9e377a, v2
	v_add_f32_e32 v2, v11, v7
	v_mul_f32_e32 v3, v88, v96
	v_fma_f32 v52, v87, v96, -v52
	v_fma_f32 v2, -0.5, v2, v100
	v_fmac_f32_e32 v3, v87, v95
	v_sub_f32_e32 v5, v8, v52
	v_mov_b32_e32 v9, v2
	v_fmac_f32_e32 v9, 0xbf737871, v5
	v_sub_f32_e32 v6, v4, v0
	v_sub_f32_e32 v10, v15, v11
	;; [unrolled: 1-line block ×3, first 2 shown]
	v_fmac_f32_e32 v2, 0x3f737871, v5
	v_fmac_f32_e32 v9, 0xbf167918, v6
	v_add_f32_e32 v10, v10, v12
	v_fmac_f32_e32 v2, 0x3f167918, v6
	v_fmac_f32_e32 v9, 0x3e9e377a, v10
	;; [unrolled: 1-line block ×3, first 2 shown]
	v_add_f32_e32 v10, v15, v3
	v_add_f32_e32 v1, v100, v15
	v_fmac_f32_e32 v100, -0.5, v10
	v_mov_b32_e32 v14, v100
	v_fmac_f32_e32 v14, 0x3f737871, v6
	v_fmac_f32_e32 v100, 0xbf737871, v6
	;; [unrolled: 1-line block ×4, first 2 shown]
	v_add_f32_e32 v5, v13, v8
	v_add_f32_e32 v5, v5, v4
	;; [unrolled: 1-line block ×7, first 2 shown]
	v_fma_f32 v54, -0.5, v5, v13
	v_add_f32_e32 v1, v1, v3
	v_sub_f32_e32 v10, v11, v15
	v_sub_f32_e32 v12, v7, v3
	;; [unrolled: 1-line block ×3, first 2 shown]
	v_mov_b32_e32 v15, v54
	v_fmac_f32_e32 v15, 0x3f737871, v3
	v_sub_f32_e32 v5, v11, v7
	v_sub_f32_e32 v6, v8, v4
	;; [unrolled: 1-line block ×3, first 2 shown]
	v_fmac_f32_e32 v54, 0xbf737871, v3
	v_fmac_f32_e32 v15, 0x3f167918, v5
	v_add_f32_e32 v6, v6, v7
	v_fmac_f32_e32 v54, 0xbf167918, v5
	v_fmac_f32_e32 v15, 0x3e9e377a, v6
	;; [unrolled: 1-line block ×3, first 2 shown]
	v_add_f32_e32 v6, v8, v52
	v_fmac_f32_e32 v13, -0.5, v6
	v_mov_b32_e32 v11, v13
	v_fmac_f32_e32 v11, 0xbf737871, v5
	v_sub_f32_e32 v4, v4, v8
	v_sub_f32_e32 v0, v0, v52
	v_fmac_f32_e32 v13, 0x3f737871, v5
	v_fmac_f32_e32 v11, 0x3f167918, v3
	v_add_f32_e32 v0, v4, v0
	v_fmac_f32_e32 v13, 0xbf167918, v3
	v_add_f32_e32 v10, v10, v12
	v_fmac_f32_e32 v11, 0x3e9e377a, v0
	v_fmac_f32_e32 v13, 0x3e9e377a, v0
	;; [unrolled: 1-line block ×4, first 2 shown]
	v_mul_f32_e32 v0, 0xbf167918, v15
	v_mul_f32_e32 v3, 0xbf737871, v11
	;; [unrolled: 1-line block ×8, first 2 shown]
	v_fmac_f32_e32 v0, 0x3f4f1bbd, v9
	v_fmac_f32_e32 v3, 0x3e9e377a, v14
	;; [unrolled: 1-line block ×8, first 2 shown]
	v_add_f32_e32 v4, v53, v1
	v_add_f32_e32 v6, v56, v0
	;; [unrolled: 1-line block ×10, first 2 shown]
	v_sub_f32_e32 v14, v53, v1
	v_sub_f32_e32 v52, v56, v0
	;; [unrolled: 1-line block ×7, first 2 shown]
	v_add_u32_e32 v57, 0x400, v97
	v_add_u32_e32 v56, 0x800, v97
	v_sub_f32_e32 v0, v58, v64
	v_sub_f32_e32 v1, v94, v87
	;; [unrolled: 1-line block ×3, first 2 shown]
	s_barrier
	ds_write2_b64 v103, v[4:5], v[6:7] offset1:8
	ds_write2_b64 v103, v[8:9], v[10:11] offset0:16 offset1:24
	ds_write2_b64 v103, v[12:13], v[14:15] offset0:32 offset1:40
	;; [unrolled: 1-line block ×4, first 2 shown]
	s_waitcnt lgkmcnt(0)
	s_barrier
	ds_read2_b64 v[12:15], v97 offset0:80 offset1:160
	ds_read2_b64 v[8:11], v57 offset0:112 offset1:192
	;; [unrolled: 1-line block ×3, first 2 shown]
	ds_read_b64 v[52:53], v99
	ds_read_b64 v[54:55], v97 offset:4480
	s_and_saveexec_b64 s[2:3], s[0:1]
	s_cbranch_execz .LBB0_19
; %bb.18:
	ds_read2_b64 v[0:3], v97 offset0:64 offset1:144
	ds_read2_b64 v[44:47], v57 offset0:96 offset1:176
	;; [unrolled: 1-line block ×3, first 2 shown]
	v_add_u32_e32 v48, 0x1000, v97
	ds_read2_b64 v[48:51], v48 offset0:32 offset1:112
.LBB0_19:
	s_or_b64 exec, exec, s[2:3]
	s_waitcnt lgkmcnt(4)
	v_mul_f32_e32 v58, v37, v13
	v_fmac_f32_e32 v58, v36, v12
	v_mul_f32_e32 v12, v37, v12
	v_fma_f32 v12, v36, v13, -v12
	v_mul_f32_e32 v13, v39, v15
	v_fmac_f32_e32 v13, v38, v14
	v_mul_f32_e32 v14, v39, v14
	v_fma_f32 v14, v38, v15, -v14
	s_waitcnt lgkmcnt(3)
	v_mul_f32_e32 v15, v33, v9
	v_fmac_f32_e32 v15, v32, v8
	v_mul_f32_e32 v8, v33, v8
	v_fma_f32 v8, v32, v9, -v8
	v_mul_f32_e32 v9, v35, v11
	v_fmac_f32_e32 v9, v34, v10
	v_mul_f32_e32 v10, v35, v10
	v_fma_f32 v10, v34, v11, -v10
	;; [unrolled: 9-line block ×3, first 2 shown]
	s_waitcnt lgkmcnt(0)
	v_mul_f32_e32 v7, v92, v55
	v_fmac_f32_e32 v7, v91, v54
	v_sub_f32_e32 v10, v53, v10
	v_sub_f32_e32 v6, v14, v6
	v_mul_f32_e32 v28, v92, v54
	v_sub_f32_e32 v9, v52, v9
	v_fma_f32 v30, v53, 2.0, -v10
	v_sub_f32_e32 v5, v13, v5
	v_fma_f32 v14, v14, 2.0, -v6
	v_sub_f32_e32 v11, v58, v11
	v_sub_f32_e32 v7, v15, v7
	v_fma_f32 v28, v91, v55, -v28
	v_fma_f32 v29, v52, 2.0, -v9
	v_fma_f32 v13, v13, 2.0, -v5
	;; [unrolled: 1-line block ×4, first 2 shown]
	v_sub_f32_e32 v33, v30, v14
	v_sub_f32_e32 v4, v12, v4
	;; [unrolled: 1-line block ×4, first 2 shown]
	v_fma_f32 v14, v30, 2.0, -v33
	v_add_f32_e32 v30, v9, v6
	v_sub_f32_e32 v15, v31, v15
	v_fma_f32 v12, v12, 2.0, -v4
	v_fma_f32 v8, v8, 2.0, -v28
	;; [unrolled: 1-line block ×3, first 2 shown]
	v_sub_f32_e32 v34, v10, v5
	v_fma_f32 v29, v9, 2.0, -v30
	v_fma_f32 v5, v31, 2.0, -v15
	v_add_f32_e32 v31, v11, v28
	v_fma_f32 v35, v10, 2.0, -v34
	v_sub_f32_e32 v36, v12, v8
	v_sub_f32_e32 v37, v4, v7
	v_fma_f32 v10, v11, 2.0, -v31
	v_mov_b32_e32 v8, v29
	v_fma_f32 v11, v4, 2.0, -v37
	v_fmac_f32_e32 v8, 0xbf3504f3, v10
	v_mov_b32_e32 v9, v35
	v_fmac_f32_e32 v9, 0xbf3504f3, v11
	v_fmac_f32_e32 v8, 0x3f3504f3, v11
	v_fma_f32 v6, v12, 2.0, -v36
	v_fmac_f32_e32 v9, 0xbf3504f3, v10
	v_fma_f32 v10, v29, 2.0, -v8
	v_mov_b32_e32 v28, v30
	v_mov_b32_e32 v29, v34
	v_sub_f32_e32 v4, v13, v5
	v_sub_f32_e32 v5, v14, v6
	v_fmac_f32_e32 v28, 0x3f3504f3, v31
	v_fmac_f32_e32 v29, 0x3f3504f3, v37
	v_fma_f32 v6, v13, 2.0, -v4
	v_fma_f32 v7, v14, 2.0, -v5
	v_add_f32_e32 v12, v32, v36
	v_sub_f32_e32 v13, v33, v15
	v_fmac_f32_e32 v28, 0x3f3504f3, v37
	v_fmac_f32_e32 v29, 0xbf3504f3, v31
	v_fma_f32 v11, v35, 2.0, -v9
	v_fma_f32 v14, v32, 2.0, -v12
	;; [unrolled: 1-line block ×5, first 2 shown]
	ds_write_b64 v99, v[6:7]
	ds_write2_b64 v97, v[10:11], v[14:15] offset0:80 offset1:160
	ds_write2_b64 v57, v[30:31], v[4:5] offset0:112 offset1:192
	;; [unrolled: 1-line block ×3, first 2 shown]
	ds_write_b64 v97, v[28:29] offset:4480
	s_and_saveexec_b64 s[2:3], s[0:1]
	s_cbranch_execz .LBB0_21
; %bb.20:
	v_mul_f32_e32 v4, v19, v40
	v_fma_f32 v4, v18, v41, -v4
	v_sub_f32_e32 v9, v1, v4
	v_mul_f32_e32 v7, v27, v45
	v_mul_f32_e32 v4, v23, v49
	v_fmac_f32_e32 v7, v26, v44
	v_fmac_f32_e32 v4, v22, v48
	v_sub_f32_e32 v10, v7, v4
	v_mul_f32_e32 v4, v25, v2
	v_fma_f32 v12, v24, v3, -v4
	v_mul_f32_e32 v4, v21, v42
	v_fma_f32 v4, v20, v43, -v4
	v_sub_f32_e32 v13, v12, v4
	v_mul_f32_e32 v8, v17, v47
	v_mul_f32_e32 v4, v90, v51
	;; [unrolled: 1-line block ×5, first 2 shown]
	v_fmac_f32_e32 v8, v16, v46
	v_fmac_f32_e32 v4, v89, v50
	v_fma_f32 v16, v16, v47, -v5
	v_mul_f32_e32 v5, v90, v50
	v_fmac_f32_e32 v25, v24, v2
	v_mul_f32_e32 v2, v21, v43
	v_fma_f32 v21, v26, v45, -v3
	v_mul_f32_e32 v3, v23, v48
	v_sub_f32_e32 v11, v9, v10
	v_sub_f32_e32 v14, v8, v4
	v_fma_f32 v5, v89, v51, -v5
	v_fmac_f32_e32 v2, v20, v42
	v_fma_f32 v3, v22, v49, -v3
	v_sub_f32_e32 v15, v13, v14
	v_mov_b32_e32 v4, v11
	v_sub_f32_e32 v17, v16, v5
	v_sub_f32_e32 v2, v25, v2
	;; [unrolled: 1-line block ×3, first 2 shown]
	v_mul_f32_e32 v3, v19, v41
	v_fmac_f32_e32 v4, 0x3f3504f3, v15
	v_add_f32_e32 v20, v17, v2
	v_fmac_f32_e32 v3, v18, v40
	v_fmac_f32_e32 v4, 0xbf3504f3, v20
	v_sub_f32_e32 v18, v0, v3
	v_fma_f32 v23, v1, 2.0, -v9
	v_fma_f32 v9, v9, 2.0, -v11
	;; [unrolled: 1-line block ×3, first 2 shown]
	v_add_f32_e32 v19, v22, v18
	v_fma_f32 v1, v21, 2.0, -v22
	v_fma_f32 v22, v25, 2.0, -v2
	;; [unrolled: 1-line block ×5, first 2 shown]
	v_mov_b32_e32 v10, v9
	v_fmac_f32_e32 v10, 0xbf3504f3, v11
	v_fma_f32 v2, v2, 2.0, -v20
	v_sub_f32_e32 v21, v23, v1
	v_fma_f32 v1, v8, 2.0, -v14
	v_fma_f32 v14, v12, 2.0, -v13
	v_fmac_f32_e32 v10, 0xbf3504f3, v2
	v_fma_f32 v13, v18, 2.0, -v19
	v_fma_f32 v12, v9, 2.0, -v10
	v_mov_b32_e32 v9, v13
	v_sub_f32_e32 v26, v25, v0
	v_fma_f32 v0, v16, 2.0, -v17
	v_fmac_f32_e32 v9, 0xbf3504f3, v2
	v_sub_f32_e32 v16, v14, v0
	v_fmac_f32_e32 v9, 0x3f3504f3, v11
	v_fma_f32 v11, v13, 2.0, -v9
	v_fma_f32 v2, v23, 2.0, -v21
	;; [unrolled: 1-line block ×3, first 2 shown]
	v_mov_b32_e32 v3, v19
	v_sub_f32_e32 v24, v22, v1
	v_sub_f32_e32 v14, v2, v13
	v_fmac_f32_e32 v3, 0x3f3504f3, v20
	v_add_f32_e32 v0, v26, v16
	v_fma_f32 v16, v2, 2.0, -v14
	v_fma_f32 v2, v25, 2.0, -v26
	;; [unrolled: 1-line block ×3, first 2 shown]
	v_fmac_f32_e32 v3, 0x3f3504f3, v15
	v_sub_f32_e32 v1, v21, v24
	v_sub_f32_e32 v13, v2, v13
	v_fma_f32 v5, v19, 2.0, -v3
	v_fma_f32 v8, v21, 2.0, -v1
	;; [unrolled: 1-line block ×4, first 2 shown]
	v_add_u32_e32 v2, 0x400, v97
	ds_write2_b64 v2, v[7:8], v[5:6] offset0:96 offset1:176
	v_add_u32_e32 v2, 0x800, v97
	ds_write2_b64 v2, v[13:14], v[9:10] offset0:128 offset1:208
	;; [unrolled: 2-line block ×3, first 2 shown]
	ds_write2_b64 v2, v[0:1], v[3:4] offset0:32 offset1:112
.LBB0_21:
	s_or_b64 exec, exec, s[2:3]
	v_mad_u64_u32 v[4:5], s[2:3], s10, v86, 0
	s_waitcnt lgkmcnt(0)
	s_barrier
	ds_read_b64 v[0:1], v99
	ds_read_b64 v[8:9], v97 offset:4480
	v_mov_b32_e32 v2, v5
	v_mad_u64_u32 v[2:3], s[2:3], s11, v86, v[2:3]
	s_waitcnt lgkmcnt(1)
	v_mul_f32_e32 v3, v85, v1
	v_fmac_f32_e32 v3, v84, v0
	v_mul_f32_e32 v0, v85, v0
	v_fma_f32 v0, v84, v1, -v0
	v_cvt_f64_f32_e32 v[5:6], v3
	v_cvt_f64_f32_e32 v[0:1], v0
	s_mov_b32 s2, 0x9999999a
	v_mad_u64_u32 v[10:11], s[4:5], s8, v98, 0
	s_mov_b32 s3, 0x3f599999
	v_mul_f64 v[6:7], v[5:6], s[2:3]
	v_mul_f64 v[12:13], v[0:1], s[2:3]
	v_mov_b32_e32 v0, v11
	v_mov_b32_e32 v5, v2
	v_mad_u64_u32 v[14:15], s[4:5], s9, v98, v[0:1]
	ds_read2_b64 v[0:3], v97 offset0:80 offset1:160
	v_lshlrev_b64 v[4:5], 3, v[4:5]
	v_cvt_f32_f64_e32 v6, v[6:7]
	v_cvt_f32_f64_e32 v7, v[12:13]
	v_mov_b32_e32 v11, v14
	s_waitcnt lgkmcnt(0)
	v_mul_f32_e32 v12, v83, v1
	v_fmac_f32_e32 v12, v82, v0
	v_mul_f32_e32 v0, v83, v0
	v_fma_f32 v0, v82, v1, -v0
	v_cvt_f64_f32_e32 v[0:1], v0
	v_cvt_f64_f32_e32 v[12:13], v12
	v_mov_b32_e32 v14, s7
	v_add_co_u32_e32 v15, vcc, s6, v4
	v_mul_f64 v[0:1], v[0:1], s[2:3]
	v_addc_co_u32_e32 v14, vcc, v14, v5, vcc
	v_mul_f64 v[4:5], v[12:13], s[2:3]
	v_lshlrev_b64 v[10:11], 3, v[10:11]
	s_mul_i32 s4, s9, 0x50
	v_add_co_u32_e32 v10, vcc, v15, v10
	v_cvt_f32_f64_e32 v13, v[0:1]
	v_mul_f32_e32 v0, v77, v3
	v_fmac_f32_e32 v0, v76, v2
	v_mul_f32_e32 v2, v77, v2
	v_addc_co_u32_e32 v11, vcc, v14, v11, vcc
	v_fma_f32 v2, v76, v3, -v2
	v_add_u32_e32 v3, 0x400, v97
	global_store_dwordx2 v[10:11], v[6:7], off
	v_cvt_f32_f64_e32 v12, v[4:5]
	ds_read2_b64 v[4:7], v3 offset0:112 offset1:192
	v_cvt_f64_f32_e32 v[0:1], v0
	v_cvt_f64_f32_e32 v[14:15], v2
	s_mul_hi_u32 s5, s8, 0x50
	s_add_i32 s5, s5, s4
	s_waitcnt lgkmcnt(0)
	v_mul_f32_e32 v2, v73, v5
	v_fmac_f32_e32 v2, v72, v4
	s_mul_i32 s4, s8, 0x50
	v_mul_f64 v[0:1], v[0:1], s[2:3]
	v_mul_f64 v[14:15], v[14:15], s[2:3]
	v_cvt_f64_f32_e32 v[16:17], v2
	s_lshl_b64 s[4:5], s[4:5], 3
	v_mul_f32_e32 v2, v73, v4
	v_mov_b32_e32 v18, s5
	v_add_co_u32_e32 v10, vcc, s4, v10
	v_fma_f32 v2, v72, v5, -v2
	v_addc_co_u32_e32 v11, vcc, v11, v18, vcc
	v_cvt_f64_f32_e32 v[4:5], v2
	global_store_dwordx2 v[10:11], v[12:13], off
	v_mul_f64 v[12:13], v[16:17], s[2:3]
	v_cvt_f32_f64_e32 v0, v[0:1]
	v_mul_f64 v[4:5], v[4:5], s[2:3]
	v_cvt_f32_f64_e32 v1, v[14:15]
	v_add_co_u32_e32 v10, vcc, s4, v10
	v_mul_f32_e32 v2, v71, v7
	v_addc_co_u32_e32 v11, vcc, v11, v18, vcc
	v_fmac_f32_e32 v2, v70, v6
	global_store_dwordx2 v[10:11], v[0:1], off
	v_cvt_f32_f64_e32 v0, v[12:13]
	v_cvt_f64_f32_e32 v[12:13], v2
	v_mul_f32_e32 v2, v71, v6
	v_fma_f32 v2, v70, v7, -v2
	v_cvt_f64_f32_e32 v[14:15], v2
	v_add_u32_e32 v2, 0x800, v97
	v_cvt_f32_f64_e32 v1, v[4:5]
	ds_read2_b64 v[4:7], v2 offset0:144 offset1:224
	v_mul_f64 v[12:13], v[12:13], s[2:3]
	v_mul_f64 v[14:15], v[14:15], s[2:3]
	v_add_co_u32_e32 v10, vcc, s4, v10
	s_waitcnt lgkmcnt(0)
	v_mul_f32_e32 v16, v81, v5
	v_fmac_f32_e32 v16, v80, v4
	v_mul_f32_e32 v4, v81, v4
	v_fma_f32 v4, v80, v5, -v4
	v_cvt_f64_f32_e32 v[4:5], v4
	v_addc_co_u32_e32 v11, vcc, v11, v18, vcc
	v_cvt_f64_f32_e32 v[16:17], v16
	v_mul_f64 v[4:5], v[4:5], s[2:3]
	global_store_dwordx2 v[10:11], v[0:1], off
	v_cvt_f32_f64_e32 v0, v[12:13]
	v_cvt_f32_f64_e32 v1, v[14:15]
	v_add_co_u32_e32 v10, vcc, s4, v10
	v_mul_f64 v[12:13], v[16:17], s[2:3]
	v_addc_co_u32_e32 v11, vcc, v11, v18, vcc
	global_store_dwordx2 v[10:11], v[0:1], off
	v_cvt_f32_f64_e32 v1, v[4:5]
	v_mul_f32_e32 v4, v75, v7
	v_fmac_f32_e32 v4, v74, v6
	v_cvt_f64_f32_e32 v[4:5], v4
	v_mul_f32_e32 v6, v75, v6
	v_cvt_f32_f64_e32 v0, v[12:13]
	v_fma_f32 v6, v74, v7, -v6
	v_mul_f64 v[4:5], v[4:5], s[2:3]
	v_mul_f32_e32 v12, v79, v9
	v_cvt_f64_f32_e32 v[6:7], v6
	v_fmac_f32_e32 v12, v78, v8
	v_mul_f32_e32 v8, v79, v8
	v_fma_f32 v8, v78, v9, -v8
	v_cvt_f64_f32_e32 v[12:13], v12
	v_cvt_f64_f32_e32 v[8:9], v8
	v_add_co_u32_e32 v10, vcc, s4, v10
	v_mul_f64 v[6:7], v[6:7], s[2:3]
	v_addc_co_u32_e32 v11, vcc, v11, v18, vcc
	global_store_dwordx2 v[10:11], v[0:1], off
	v_cvt_f32_f64_e32 v0, v[4:5]
	v_mul_f64 v[4:5], v[12:13], s[2:3]
	v_mul_f64 v[8:9], v[8:9], s[2:3]
	v_cvt_f32_f64_e32 v1, v[6:7]
	v_add_co_u32_e32 v6, vcc, s4, v10
	v_addc_co_u32_e32 v7, vcc, v11, v18, vcc
	v_cvt_f32_f64_e32 v4, v[4:5]
	v_cvt_f32_f64_e32 v5, v[8:9]
	global_store_dwordx2 v[6:7], v[0:1], off
	v_add_co_u32_e32 v0, vcc, s4, v6
	v_addc_co_u32_e32 v1, vcc, v7, v18, vcc
	global_store_dwordx2 v[0:1], v[4:5], off
	s_and_b64 exec, exec, s[0:1]
	s_cbranch_execz .LBB0_23
; %bb.22:
	global_load_dwordx2 v[12:13], v[68:69], off offset:512
	global_load_dwordx2 v[14:15], v[68:69], off offset:1152
	;; [unrolled: 1-line block ×4, first 2 shown]
	ds_read2_b64 v[4:7], v97 offset0:64 offset1:144
	v_mov_b32_e32 v8, 0xfffff080
	v_mad_u64_u32 v[0:1], s[0:1], s8, v8, v[0:1]
	ds_read2_b64 v[8:11], v3 offset0:96 offset1:176
	s_mul_i32 s6, s9, 0xfffff080
	s_sub_i32 s0, s6, s8
	v_mov_b32_e32 v26, s5
	v_add_u32_e32 v1, s0, v1
	v_add_co_u32_e32 v20, vcc, s4, v0
	v_addc_co_u32_e32 v21, vcc, v1, v26, vcc
	v_add_co_u32_e32 v22, vcc, s4, v20
	v_addc_co_u32_e32 v23, vcc, v21, v26, vcc
	;; [unrolled: 2-line block ×3, first 2 shown]
	s_movk_i32 s0, 0x1000
	s_waitcnt vmcnt(3) lgkmcnt(1)
	v_mul_f32_e32 v3, v5, v13
	v_mul_f32_e32 v13, v4, v13
	s_waitcnt vmcnt(2)
	v_mul_f32_e32 v27, v7, v15
	v_mul_f32_e32 v15, v6, v15
	v_fmac_f32_e32 v3, v4, v12
	v_fma_f32 v5, v12, v5, -v13
	s_waitcnt vmcnt(1) lgkmcnt(0)
	v_mul_f32_e32 v28, v9, v17
	v_mul_f32_e32 v17, v8, v17
	s_waitcnt vmcnt(0)
	v_mul_f32_e32 v29, v11, v19
	v_fmac_f32_e32 v27, v6, v14
	v_fma_f32 v12, v14, v7, -v15
	v_cvt_f64_f32_e32 v[3:4], v3
	v_cvt_f64_f32_e32 v[5:6], v5
	v_mul_f32_e32 v19, v10, v19
	v_fmac_f32_e32 v28, v8, v16
	v_fma_f32 v13, v16, v9, -v17
	v_fmac_f32_e32 v29, v10, v18
	v_cvt_f64_f32_e32 v[7:8], v27
	v_cvt_f64_f32_e32 v[9:10], v12
	v_fma_f32 v17, v18, v11, -v19
	v_cvt_f64_f32_e32 v[11:12], v28
	v_cvt_f64_f32_e32 v[13:14], v13
	;; [unrolled: 1-line block ×4, first 2 shown]
	v_mul_f64 v[3:4], v[3:4], s[2:3]
	v_mul_f64 v[5:6], v[5:6], s[2:3]
	;; [unrolled: 1-line block ×8, first 2 shown]
	v_cvt_f32_f64_e32 v3, v[3:4]
	v_cvt_f32_f64_e32 v4, v[5:6]
	;; [unrolled: 1-line block ×8, first 2 shown]
	global_store_dwordx2 v[0:1], v[3:4], off
	global_store_dwordx2 v[20:21], v[5:6], off
	;; [unrolled: 1-line block ×4, first 2 shown]
	global_load_dwordx2 v[4:5], v[68:69], off offset:3072
	ds_read2_b64 v[0:3], v2 offset0:128 offset1:208
	s_waitcnt vmcnt(0) lgkmcnt(0)
	v_mul_f32_e32 v6, v1, v5
	v_mul_f32_e32 v5, v0, v5
	v_fmac_f32_e32 v6, v0, v4
	v_fma_f32 v4, v4, v1, -v5
	v_cvt_f64_f32_e32 v[0:1], v6
	v_cvt_f64_f32_e32 v[4:5], v4
	v_mul_f64 v[0:1], v[0:1], s[2:3]
	v_mul_f64 v[4:5], v[4:5], s[2:3]
	v_cvt_f32_f64_e32 v0, v[0:1]
	v_cvt_f32_f64_e32 v1, v[4:5]
	v_add_co_u32_e32 v4, vcc, s4, v24
	v_addc_co_u32_e32 v5, vcc, v25, v26, vcc
	global_store_dwordx2 v[4:5], v[0:1], off
	global_load_dwordx2 v[0:1], v[68:69], off offset:3712
	s_waitcnt vmcnt(0)
	v_mul_f32_e32 v6, v3, v1
	v_mul_f32_e32 v1, v2, v1
	v_fmac_f32_e32 v6, v2, v0
	v_fma_f32 v2, v0, v3, -v1
	v_cvt_f64_f32_e32 v[0:1], v6
	v_cvt_f64_f32_e32 v[2:3], v2
	v_add_co_u32_e32 v6, vcc, s0, v68
	v_mul_f64 v[0:1], v[0:1], s[2:3]
	v_mul_f64 v[2:3], v[2:3], s[2:3]
	v_addc_co_u32_e32 v7, vcc, 0, v69, vcc
	v_add_co_u32_e32 v4, vcc, s4, v4
	v_addc_co_u32_e32 v5, vcc, v5, v26, vcc
	v_cvt_f32_f64_e32 v0, v[0:1]
	v_cvt_f32_f64_e32 v1, v[2:3]
	global_store_dwordx2 v[4:5], v[0:1], off
	global_load_dwordx2 v[8:9], v[6:7], off offset:256
	v_add_u32_e32 v0, 0x1000, v97
	ds_read2_b64 v[0:3], v0 offset0:32 offset1:112
	v_add_co_u32_e32 v4, vcc, s4, v4
	v_addc_co_u32_e32 v5, vcc, v5, v26, vcc
	s_waitcnt vmcnt(0) lgkmcnt(0)
	v_mul_f32_e32 v10, v1, v9
	v_mul_f32_e32 v9, v0, v9
	v_fmac_f32_e32 v10, v0, v8
	v_fma_f32 v8, v8, v1, -v9
	v_cvt_f64_f32_e32 v[0:1], v10
	v_cvt_f64_f32_e32 v[8:9], v8
	v_mul_f64 v[0:1], v[0:1], s[2:3]
	v_mul_f64 v[8:9], v[8:9], s[2:3]
	v_cvt_f32_f64_e32 v0, v[0:1]
	v_cvt_f32_f64_e32 v1, v[8:9]
	global_store_dwordx2 v[4:5], v[0:1], off
	global_load_dwordx2 v[0:1], v[6:7], off offset:896
	s_waitcnt vmcnt(0)
	v_mul_f32_e32 v6, v3, v1
	v_mul_f32_e32 v1, v2, v1
	v_fmac_f32_e32 v6, v2, v0
	v_fma_f32 v2, v0, v3, -v1
	v_cvt_f64_f32_e32 v[0:1], v6
	v_cvt_f64_f32_e32 v[2:3], v2
	v_mul_f64 v[0:1], v[0:1], s[2:3]
	v_mul_f64 v[2:3], v[2:3], s[2:3]
	v_cvt_f32_f64_e32 v0, v[0:1]
	v_cvt_f32_f64_e32 v1, v[2:3]
	v_add_co_u32_e32 v2, vcc, s4, v4
	v_addc_co_u32_e32 v3, vcc, v5, v26, vcc
	global_store_dwordx2 v[2:3], v[0:1], off
.LBB0_23:
	s_endpgm
	.section	.rodata,"a",@progbits
	.p2align	6, 0x0
	.amdhsa_kernel bluestein_single_back_len640_dim1_sp_op_CI_CI
		.amdhsa_group_segment_fixed_size 10240
		.amdhsa_private_segment_fixed_size 0
		.amdhsa_kernarg_size 104
		.amdhsa_user_sgpr_count 6
		.amdhsa_user_sgpr_private_segment_buffer 1
		.amdhsa_user_sgpr_dispatch_ptr 0
		.amdhsa_user_sgpr_queue_ptr 0
		.amdhsa_user_sgpr_kernarg_segment_ptr 1
		.amdhsa_user_sgpr_dispatch_id 0
		.amdhsa_user_sgpr_flat_scratch_init 0
		.amdhsa_user_sgpr_private_segment_size 0
		.amdhsa_uses_dynamic_stack 0
		.amdhsa_system_sgpr_private_segment_wavefront_offset 0
		.amdhsa_system_sgpr_workgroup_id_x 1
		.amdhsa_system_sgpr_workgroup_id_y 0
		.amdhsa_system_sgpr_workgroup_id_z 0
		.amdhsa_system_sgpr_workgroup_info 0
		.amdhsa_system_vgpr_workitem_id 0
		.amdhsa_next_free_vgpr 129
		.amdhsa_next_free_sgpr 22
		.amdhsa_reserve_vcc 1
		.amdhsa_reserve_flat_scratch 0
		.amdhsa_float_round_mode_32 0
		.amdhsa_float_round_mode_16_64 0
		.amdhsa_float_denorm_mode_32 3
		.amdhsa_float_denorm_mode_16_64 3
		.amdhsa_dx10_clamp 1
		.amdhsa_ieee_mode 1
		.amdhsa_fp16_overflow 0
		.amdhsa_exception_fp_ieee_invalid_op 0
		.amdhsa_exception_fp_denorm_src 0
		.amdhsa_exception_fp_ieee_div_zero 0
		.amdhsa_exception_fp_ieee_overflow 0
		.amdhsa_exception_fp_ieee_underflow 0
		.amdhsa_exception_fp_ieee_inexact 0
		.amdhsa_exception_int_div_zero 0
	.end_amdhsa_kernel
	.text
.Lfunc_end0:
	.size	bluestein_single_back_len640_dim1_sp_op_CI_CI, .Lfunc_end0-bluestein_single_back_len640_dim1_sp_op_CI_CI
                                        ; -- End function
	.section	.AMDGPU.csdata,"",@progbits
; Kernel info:
; codeLenInByte = 10356
; NumSgprs: 26
; NumVgprs: 129
; ScratchSize: 0
; MemoryBound: 0
; FloatMode: 240
; IeeeMode: 1
; LDSByteSize: 10240 bytes/workgroup (compile time only)
; SGPRBlocks: 3
; VGPRBlocks: 32
; NumSGPRsForWavesPerEU: 26
; NumVGPRsForWavesPerEU: 129
; Occupancy: 1
; WaveLimiterHint : 1
; COMPUTE_PGM_RSRC2:SCRATCH_EN: 0
; COMPUTE_PGM_RSRC2:USER_SGPR: 6
; COMPUTE_PGM_RSRC2:TRAP_HANDLER: 0
; COMPUTE_PGM_RSRC2:TGID_X_EN: 1
; COMPUTE_PGM_RSRC2:TGID_Y_EN: 0
; COMPUTE_PGM_RSRC2:TGID_Z_EN: 0
; COMPUTE_PGM_RSRC2:TIDIG_COMP_CNT: 0
	.type	__hip_cuid_ac2807f950c1dfae,@object ; @__hip_cuid_ac2807f950c1dfae
	.section	.bss,"aw",@nobits
	.globl	__hip_cuid_ac2807f950c1dfae
__hip_cuid_ac2807f950c1dfae:
	.byte	0                               ; 0x0
	.size	__hip_cuid_ac2807f950c1dfae, 1

	.ident	"AMD clang version 19.0.0git (https://github.com/RadeonOpenCompute/llvm-project roc-6.4.0 25133 c7fe45cf4b819c5991fe208aaa96edf142730f1d)"
	.section	".note.GNU-stack","",@progbits
	.addrsig
	.addrsig_sym __hip_cuid_ac2807f950c1dfae
	.amdgpu_metadata
---
amdhsa.kernels:
  - .args:
      - .actual_access:  read_only
        .address_space:  global
        .offset:         0
        .size:           8
        .value_kind:     global_buffer
      - .actual_access:  read_only
        .address_space:  global
        .offset:         8
        .size:           8
        .value_kind:     global_buffer
      - .actual_access:  read_only
        .address_space:  global
        .offset:         16
        .size:           8
        .value_kind:     global_buffer
      - .actual_access:  read_only
        .address_space:  global
        .offset:         24
        .size:           8
        .value_kind:     global_buffer
      - .actual_access:  read_only
        .address_space:  global
        .offset:         32
        .size:           8
        .value_kind:     global_buffer
      - .offset:         40
        .size:           8
        .value_kind:     by_value
      - .address_space:  global
        .offset:         48
        .size:           8
        .value_kind:     global_buffer
      - .address_space:  global
        .offset:         56
        .size:           8
        .value_kind:     global_buffer
      - .address_space:  global
        .offset:         64
        .size:           8
        .value_kind:     global_buffer
      - .address_space:  global
        .offset:         72
        .size:           8
        .value_kind:     global_buffer
      - .offset:         80
        .size:           4
        .value_kind:     by_value
      - .address_space:  global
        .offset:         88
        .size:           8
        .value_kind:     global_buffer
      - .address_space:  global
        .offset:         96
        .size:           8
        .value_kind:     global_buffer
    .group_segment_fixed_size: 10240
    .kernarg_segment_align: 8
    .kernarg_segment_size: 104
    .language:       OpenCL C
    .language_version:
      - 2
      - 0
    .max_flat_workgroup_size: 128
    .name:           bluestein_single_back_len640_dim1_sp_op_CI_CI
    .private_segment_fixed_size: 0
    .sgpr_count:     26
    .sgpr_spill_count: 0
    .symbol:         bluestein_single_back_len640_dim1_sp_op_CI_CI.kd
    .uniform_work_group_size: 1
    .uses_dynamic_stack: false
    .vgpr_count:     129
    .vgpr_spill_count: 0
    .wavefront_size: 64
amdhsa.target:   amdgcn-amd-amdhsa--gfx906
amdhsa.version:
  - 1
  - 2
...

	.end_amdgpu_metadata
